;; amdgpu-corpus repo=zjin-lcf/HeCBench kind=compiled arch=gfx950 opt=O3
	.amdgcn_target "amdgcn-amd-amdhsa--gfx950"
	.amdhsa_code_object_version 6
	.text
	.protected	_ZN10mean_shift3gpu10mean_shiftEPKfPf ; -- Begin function _ZN10mean_shift3gpu10mean_shiftEPKfPf
	.globl	_ZN10mean_shift3gpu10mean_shiftEPKfPf
	.p2align	8
	.type	_ZN10mean_shift3gpu10mean_shiftEPKfPf,@function
_ZN10mean_shift3gpu10mean_shiftEPKfPf:  ; @_ZN10mean_shift3gpu10mean_shiftEPKfPf
; %bb.0:
	s_load_dword s3, s[0:1], 0x1c
	s_waitcnt lgkmcnt(0)
	s_and_b32 s3, s3, 0xffff
	s_mul_i32 s2, s2, s3
	v_add_u32_e32 v0, s2, v0
	s_movk_i32 s2, 0x2710
	v_cmp_gt_u32_e32 vcc, s2, v0
	s_and_saveexec_b64 s[2:3], vcc
	s_cbranch_execz .LBB0_12
; %bb.1:
	s_load_dwordx4 s[0:3], s[0:1], 0x0
	v_lshl_add_u32 v6, v0, 1, v0
	v_mov_b32_e32 v7, 0
	s_mov_b64 s[4:5], 0
	s_mov_b32 s14, 0x42700000
	s_waitcnt lgkmcnt(0)
	v_lshl_add_u64 v[0:1], v[6:7], 2, s[0:1]
	global_load_dwordx3 v[0:2], v[0:1], off
	s_mov_b32 s15, 0x3fb8aa3b
	s_mov_b32 s16, 0xc2ce8ed0
	s_mov_b32 s17, 0x42b17218
	v_mov_b32_e32 v10, 0x7f800000
	v_mov_b32_e32 v3, v7
	;; [unrolled: 1-line block ×4, first 2 shown]
	s_waitcnt vmcnt(0)
	v_mov_b32_e32 v8, v0
	v_mov_b32_e32 v9, v2
	;; [unrolled: 1-line block ×3, first 2 shown]
	s_branch .LBB0_3
.LBB0_2:                                ;   in Loop: Header=BB0_3 Depth=1
	s_or_b64 exec, exec, s[6:7]
	s_add_u32 s4, s4, 48
	s_addc_u32 s5, s5, 0
	s_cmp_eq_u64 s[4:5], 0x1d4c0
	s_cbranch_scc1 .LBB0_11
.LBB0_3:                                ; =>This Inner Loop Header: Depth=1
	s_add_u32 s6, s0, s4
	s_addc_u32 s7, s1, s5
	s_load_dwordx2 s[10:11], s[6:7], 0x0
	s_load_dword s9, s[6:7], 0x8
	s_waitcnt lgkmcnt(0)
	s_mov_b32 s8, s10
	v_pk_add_f32 v[12:13], v[8:9], s[8:9] neg_lo:[0,1] neg_hi:[0,1]
	v_subrev_f32_e32 v2, s11, v1
	v_pk_mul_f32 v[12:13], v[12:13], v[12:13]
	s_nop 0
	v_fma_f32 v2, v2, v2, v12
	v_add_f32_e32 v2, v2, v13
	v_cmp_ge_f32_e32 vcc, s14, v2
	s_and_saveexec_b64 s[12:13], vcc
	s_cbranch_execz .LBB0_5
; %bb.4:                                ;   in Loop: Header=BB0_3 Depth=1
	v_mul_f32_e32 v2, 0xbd000000, v2
	v_mul_f32_e32 v11, 0x3fb8aa3b, v2
	v_fma_f32 v12, v2, s15, -v11
	v_rndne_f32_e32 v13, v11
	v_fmac_f32_e32 v12, 0x32a5705f, v2
	v_sub_f32_e32 v11, v11, v13
	v_add_f32_e32 v11, v11, v12
	v_cvt_i32_f32_e32 v12, v13
	v_exp_f32_e32 v11, v11
	v_cmp_ngt_f32_e32 vcc, s16, v2
	v_ldexp_f32 v11, v11, v12
	s_nop 0
	v_cndmask_b32_e32 v11, 0, v11, vcc
	v_cmp_nlt_f32_e32 vcc, s17, v2
	s_nop 1
	v_cndmask_b32_e32 v2, v10, v11, vcc
	v_pk_fma_f32 v[4:5], v[2:3], s[10:11], v[4:5] op_sel_hi:[0,1,1]
	v_fmac_f32_e32 v0, s9, v2
	v_add_f32_e32 v3, v3, v2
.LBB0_5:                                ;   in Loop: Header=BB0_3 Depth=1
	s_or_b64 exec, exec, s[12:13]
	s_load_dwordx2 s[10:11], s[6:7], 0xc
	s_load_dword s9, s[6:7], 0x14
	s_waitcnt lgkmcnt(0)
	s_mov_b32 s8, s10
	v_pk_add_f32 v[12:13], v[8:9], s[8:9] neg_lo:[0,1] neg_hi:[0,1]
	v_subrev_f32_e32 v2, s11, v1
	v_pk_mul_f32 v[12:13], v[12:13], v[12:13]
	s_nop 0
	v_fma_f32 v2, v2, v2, v12
	v_add_f32_e32 v2, v2, v13
	v_cmp_ge_f32_e32 vcc, s14, v2
	s_and_saveexec_b64 s[12:13], vcc
	s_cbranch_execz .LBB0_7
; %bb.6:                                ;   in Loop: Header=BB0_3 Depth=1
	v_mul_f32_e32 v2, 0xbd000000, v2
	v_mul_f32_e32 v11, 0x3fb8aa3b, v2
	v_fma_f32 v12, v2, s15, -v11
	v_rndne_f32_e32 v13, v11
	v_fmac_f32_e32 v12, 0x32a5705f, v2
	v_sub_f32_e32 v11, v11, v13
	v_add_f32_e32 v11, v11, v12
	v_cvt_i32_f32_e32 v12, v13
	v_exp_f32_e32 v11, v11
	v_cmp_ngt_f32_e32 vcc, s16, v2
	v_ldexp_f32 v11, v11, v12
	s_nop 0
	v_cndmask_b32_e32 v11, 0, v11, vcc
	v_cmp_nlt_f32_e32 vcc, s17, v2
	s_nop 1
	v_cndmask_b32_e32 v2, v10, v11, vcc
	v_pk_fma_f32 v[4:5], v[2:3], s[10:11], v[4:5] op_sel_hi:[0,1,1]
	v_fmac_f32_e32 v0, s9, v2
	v_add_f32_e32 v3, v3, v2
.LBB0_7:                                ;   in Loop: Header=BB0_3 Depth=1
	s_or_b64 exec, exec, s[12:13]
	;; [unrolled: 35-line block ×3, first 2 shown]
	s_load_dwordx2 s[10:11], s[6:7], 0x24
	s_load_dword s9, s[6:7], 0x2c
	s_waitcnt lgkmcnt(0)
	s_mov_b32 s8, s10
	v_pk_add_f32 v[12:13], v[8:9], s[8:9] neg_lo:[0,1] neg_hi:[0,1]
	v_subrev_f32_e32 v2, s11, v1
	v_pk_mul_f32 v[12:13], v[12:13], v[12:13]
	s_nop 0
	v_fma_f32 v2, v2, v2, v12
	v_add_f32_e32 v2, v2, v13
	v_cmp_ge_f32_e32 vcc, s14, v2
	s_and_saveexec_b64 s[6:7], vcc
	s_cbranch_execz .LBB0_2
; %bb.10:                               ;   in Loop: Header=BB0_3 Depth=1
	v_mul_f32_e32 v2, 0xbd000000, v2
	v_mul_f32_e32 v11, 0x3fb8aa3b, v2
	v_fma_f32 v12, v2, s15, -v11
	v_rndne_f32_e32 v13, v11
	v_fmac_f32_e32 v12, 0x32a5705f, v2
	v_sub_f32_e32 v11, v11, v13
	v_add_f32_e32 v11, v11, v12
	v_cvt_i32_f32_e32 v12, v13
	v_exp_f32_e32 v11, v11
	v_cmp_ngt_f32_e32 vcc, s16, v2
	v_ldexp_f32 v11, v11, v12
	s_nop 0
	v_cndmask_b32_e32 v11, 0, v11, vcc
	v_cmp_nlt_f32_e32 vcc, s17, v2
	s_nop 1
	v_cndmask_b32_e32 v2, v10, v11, vcc
	v_pk_fma_f32 v[4:5], v[2:3], s[10:11], v[4:5] op_sel_hi:[0,1,1]
	v_fmac_f32_e32 v0, s9, v2
	v_add_f32_e32 v3, v3, v2
	s_branch .LBB0_2
.LBB0_11:
	v_div_scale_f32 v1, s[0:1], v3, v3, v5
	v_rcp_f32_e32 v2, v1
	v_mov_b32_e32 v8, s2
	v_mov_b32_e32 v9, s3
	v_lshl_add_u64 v[8:9], v[6:7], 2, v[8:9]
	v_fma_f32 v6, -v1, v2, 1.0
	v_fmac_f32_e32 v2, v6, v2
	v_div_scale_f32 v6, vcc, v5, v3, v5
	v_mul_f32_e32 v7, v6, v2
	v_fma_f32 v10, -v1, v7, v6
	v_fmac_f32_e32 v7, v10, v2
	v_fma_f32 v1, -v1, v7, v6
	v_div_scale_f32 v6, s[0:1], v3, v3, v4
	v_rcp_f32_e32 v10, v6
	v_div_fmas_f32 v1, v1, v2, v7
	v_div_fixup_f32 v5, v1, v3, v5
	v_fma_f32 v1, -v6, v10, 1.0
	v_fmac_f32_e32 v10, v1, v10
	v_div_scale_f32 v1, vcc, v4, v3, v4
	v_mul_f32_e32 v2, v1, v10
	v_fma_f32 v7, -v6, v2, v1
	v_fmac_f32_e32 v2, v7, v10
	v_fma_f32 v1, -v6, v2, v1
	v_div_scale_f32 v6, s[0:1], v3, v3, v0
	v_rcp_f32_e32 v7, v6
	v_div_fmas_f32 v1, v1, v10, v2
	v_div_fixup_f32 v4, v1, v3, v4
	v_fma_f32 v1, -v6, v7, 1.0
	v_fmac_f32_e32 v7, v1, v7
	v_div_scale_f32 v1, vcc, v0, v3, v0
	v_mul_f32_e32 v2, v1, v7
	v_fma_f32 v10, -v6, v2, v1
	v_fmac_f32_e32 v2, v10, v7
	v_fma_f32 v1, -v6, v2, v1
	v_div_fmas_f32 v1, v1, v7, v2
	v_div_fixup_f32 v6, v1, v3, v0
	global_store_dwordx3 v[8:9], v[4:6], off
.LBB0_12:
	s_endpgm
	.section	.rodata,"a",@progbits
	.p2align	6, 0x0
	.amdhsa_kernel _ZN10mean_shift3gpu10mean_shiftEPKfPf
		.amdhsa_group_segment_fixed_size 0
		.amdhsa_private_segment_fixed_size 0
		.amdhsa_kernarg_size 272
		.amdhsa_user_sgpr_count 2
		.amdhsa_user_sgpr_dispatch_ptr 0
		.amdhsa_user_sgpr_queue_ptr 0
		.amdhsa_user_sgpr_kernarg_segment_ptr 1
		.amdhsa_user_sgpr_dispatch_id 0
		.amdhsa_user_sgpr_kernarg_preload_length 0
		.amdhsa_user_sgpr_kernarg_preload_offset 0
		.amdhsa_user_sgpr_private_segment_size 0
		.amdhsa_uses_dynamic_stack 0
		.amdhsa_enable_private_segment 0
		.amdhsa_system_sgpr_workgroup_id_x 1
		.amdhsa_system_sgpr_workgroup_id_y 0
		.amdhsa_system_sgpr_workgroup_id_z 0
		.amdhsa_system_sgpr_workgroup_info 0
		.amdhsa_system_vgpr_workitem_id 0
		.amdhsa_next_free_vgpr 14
		.amdhsa_next_free_sgpr 18
		.amdhsa_accum_offset 16
		.amdhsa_reserve_vcc 1
		.amdhsa_float_round_mode_32 0
		.amdhsa_float_round_mode_16_64 0
		.amdhsa_float_denorm_mode_32 3
		.amdhsa_float_denorm_mode_16_64 3
		.amdhsa_dx10_clamp 1
		.amdhsa_ieee_mode 1
		.amdhsa_fp16_overflow 0
		.amdhsa_tg_split 0
		.amdhsa_exception_fp_ieee_invalid_op 0
		.amdhsa_exception_fp_denorm_src 0
		.amdhsa_exception_fp_ieee_div_zero 0
		.amdhsa_exception_fp_ieee_overflow 0
		.amdhsa_exception_fp_ieee_underflow 0
		.amdhsa_exception_fp_ieee_inexact 0
		.amdhsa_exception_int_div_zero 0
	.end_amdhsa_kernel
	.text
.Lfunc_end0:
	.size	_ZN10mean_shift3gpu10mean_shiftEPKfPf, .Lfunc_end0-_ZN10mean_shift3gpu10mean_shiftEPKfPf
                                        ; -- End function
	.set _ZN10mean_shift3gpu10mean_shiftEPKfPf.num_vgpr, 14
	.set _ZN10mean_shift3gpu10mean_shiftEPKfPf.num_agpr, 0
	.set _ZN10mean_shift3gpu10mean_shiftEPKfPf.numbered_sgpr, 18
	.set _ZN10mean_shift3gpu10mean_shiftEPKfPf.num_named_barrier, 0
	.set _ZN10mean_shift3gpu10mean_shiftEPKfPf.private_seg_size, 0
	.set _ZN10mean_shift3gpu10mean_shiftEPKfPf.uses_vcc, 1
	.set _ZN10mean_shift3gpu10mean_shiftEPKfPf.uses_flat_scratch, 0
	.set _ZN10mean_shift3gpu10mean_shiftEPKfPf.has_dyn_sized_stack, 0
	.set _ZN10mean_shift3gpu10mean_shiftEPKfPf.has_recursion, 0
	.set _ZN10mean_shift3gpu10mean_shiftEPKfPf.has_indirect_call, 0
	.section	.AMDGPU.csdata,"",@progbits
; Kernel info:
; codeLenInByte = 1140
; TotalNumSgprs: 24
; NumVgprs: 14
; NumAgprs: 0
; TotalNumVgprs: 14
; ScratchSize: 0
; MemoryBound: 0
; FloatMode: 240
; IeeeMode: 1
; LDSByteSize: 0 bytes/workgroup (compile time only)
; SGPRBlocks: 2
; VGPRBlocks: 1
; NumSGPRsForWavesPerEU: 24
; NumVGPRsForWavesPerEU: 14
; AccumOffset: 16
; Occupancy: 8
; WaveLimiterHint : 0
; COMPUTE_PGM_RSRC2:SCRATCH_EN: 0
; COMPUTE_PGM_RSRC2:USER_SGPR: 2
; COMPUTE_PGM_RSRC2:TRAP_HANDLER: 0
; COMPUTE_PGM_RSRC2:TGID_X_EN: 1
; COMPUTE_PGM_RSRC2:TGID_Y_EN: 0
; COMPUTE_PGM_RSRC2:TGID_Z_EN: 0
; COMPUTE_PGM_RSRC2:TIDIG_COMP_CNT: 0
; COMPUTE_PGM_RSRC3_GFX90A:ACCUM_OFFSET: 3
; COMPUTE_PGM_RSRC3_GFX90A:TG_SPLIT: 0
	.text
	.protected	_ZN10mean_shift3gpu17mean_shift_tilingEPKfPf ; -- Begin function _ZN10mean_shift3gpu17mean_shift_tilingEPKfPf
	.globl	_ZN10mean_shift3gpu17mean_shift_tilingEPKfPf
	.p2align	8
	.type	_ZN10mean_shift3gpu17mean_shift_tilingEPKfPf,@function
_ZN10mean_shift3gpu17mean_shift_tilingEPKfPf: ; @_ZN10mean_shift3gpu17mean_shift_tilingEPKfPf
; %bb.0:
	s_load_dword s3, s[0:1], 0x1c
	s_load_dwordx4 s[4:7], s[0:1], 0x0
	v_mov_b32_e32 v1, 0x300
	v_mov_b32_e32 v7, 0
	v_mul_u32_u24_e32 v19, 12, v0
	s_waitcnt lgkmcnt(0)
	s_and_b32 s0, s3, 0xffff
	s_mul_i32 s2, s2, s0
	v_add_u32_e32 v20, s2, v0
	v_lshl_add_u32 v8, v20, 1, v20
	v_ashrrev_i32_e32 v9, 31, v8
	v_lshl_add_u32 v21, v0, 2, v1
	v_lshl_add_u64 v[12:13], v[8:9], 2, s[4:5]
	s_mov_b32 s2, 0
	s_movk_i32 s3, 0x270f
	v_mov_b32_e32 v22, 0
	s_mov_b32 s8, 0x3fb8aa3b
	s_mov_b32 s9, 0xc2ce8ed0
	;; [unrolled: 1-line block ×3, first 2 shown]
	v_mov_b32_e32 v23, 0x7f800000
	v_mov_b32_e32 v1, 0
	;; [unrolled: 1-line block ×5, first 2 shown]
	s_branch .LBB1_2
.LBB1_1:                                ;   in Loop: Header=BB1_2 Depth=1
	s_add_i32 s2, s2, 1
	s_cmpk_eq_i32 s2, 0x9d
	s_barrier
	s_cbranch_scc1 .LBB1_16
.LBB1_2:                                ; =>This Loop Header: Depth=1
                                        ;     Child Loop BB1_8 Depth 2
	v_lshl_add_u32 v2, s2, 6, v0
	v_cmp_lt_u32_e32 vcc, s3, v2
	s_and_saveexec_b64 s[0:1], vcc
	s_xor_b64 s[0:1], exec, s[0:1]
	s_cbranch_execz .LBB1_4
; %bb.3:                                ;   in Loop: Header=BB1_2 Depth=1
	ds_write2_b32 v19, v7, v7 offset1:1
	ds_write_b32 v19, v22 offset:8
                                        ; implicit-def: $vgpr2
.LBB1_4:                                ;   in Loop: Header=BB1_2 Depth=1
	s_or_saveexec_b64 s[0:1], s[0:1]
	v_mov_b32_e32 v3, 0
	s_xor_b64 exec, exec, s[0:1]
	s_cbranch_execz .LBB1_6
; %bb.5:                                ;   in Loop: Header=BB1_2 Depth=1
	v_lshl_add_u32 v6, v2, 1, v2
	v_lshl_add_u64 v[2:3], v[6:7], 2, s[4:5]
	global_load_dwordx3 v[2:4], v[2:3], off
	s_waitcnt vmcnt(0)
	ds_write2_b32 v19, v2, v3 offset1:1
	ds_write_b32 v19, v4 offset:8
	v_mov_b32_e32 v3, 1.0
.LBB1_6:                                ;   in Loop: Header=BB1_2 Depth=1
	s_or_b64 exec, exec, s[0:1]
	ds_write_b32 v21, v3
	s_waitcnt lgkmcnt(0)
	s_barrier
	global_load_dwordx3 v[2:4], v[12:13], off
	s_mov_b32 s11, 0
	s_mov_b32 s12, 0
	s_waitcnt vmcnt(0)
	v_mov_b32_e32 v14, v2
	v_mov_b32_e32 v15, v4
	s_branch .LBB1_8
.LBB1_7:                                ;   in Loop: Header=BB1_8 Depth=2
	s_or_b64 exec, exec, s[0:1]
	s_add_i32 s12, s12, 16
	s_add_i32 s11, s11, 48
	s_cmpk_eq_i32 s12, 0x100
	s_cbranch_scc1 .LBB1_1
.LBB1_8:                                ;   Parent Loop BB1_2 Depth=1
                                        ; =>  This Inner Loop Header: Depth=2
	v_mov_b32_e32 v2, s11
	ds_read_b96 v[4:6], v2
	v_mov_b32_e32 v2, s12
	ds_read_b32 v2, v2 offset:768
	s_waitcnt lgkmcnt(1)
	v_mov_b32_e32 v16, v4
	v_mov_b32_e32 v17, v6
	v_pk_add_f32 v[16:17], v[14:15], v[16:17] neg_lo:[0,1] neg_hi:[0,1]
	v_sub_f32_e32 v24, v3, v5
	v_pk_mul_f32 v[16:17], v[16:17], v[16:17]
	s_nop 0
	v_fma_f32 v16, v24, v24, v16
	v_add_f32_e32 v16, v16, v17
	s_waitcnt lgkmcnt(0)
	v_mul_f32_e32 v17, 0x42700000, v2
	v_cmp_le_f32_e32 vcc, v16, v17
	s_and_saveexec_b64 s[0:1], vcc
	s_cbranch_execz .LBB1_10
; %bb.9:                                ;   in Loop: Header=BB1_8 Depth=2
	v_mul_f32_e32 v16, 0xbd000000, v16
	v_mul_f32_e32 v17, 0x3fb8aa3b, v16
	v_fma_f32 v24, v16, s8, -v17
	v_rndne_f32_e32 v25, v17
	v_fmac_f32_e32 v24, 0x32a5705f, v16
	v_sub_f32_e32 v17, v17, v25
	v_add_f32_e32 v17, v17, v24
	v_cvt_i32_f32_e32 v24, v25
	v_exp_f32_e32 v17, v17
	v_cmp_ngt_f32_e32 vcc, s9, v16
	v_ldexp_f32 v17, v17, v24
	s_nop 0
	v_cndmask_b32_e32 v17, 0, v17, vcc
	v_cmp_nlt_f32_e32 vcc, s10, v16
	s_nop 1
	v_cndmask_b32_e32 v16, v23, v17, vcc
	v_pk_fma_f32 v[10:11], v[16:17], v[4:5], v[10:11] op_sel_hi:[0,1,1]
	v_fmac_f32_e32 v18, v16, v6
	v_fmac_f32_e32 v1, v2, v16
.LBB1_10:                               ;   in Loop: Header=BB1_8 Depth=2
	s_or_b64 exec, exec, s[0:1]
	v_mov_b32_e32 v2, s11
	ds_read2_b32 v[16:17], v2 offset0:3 offset1:4
	ds_read_b32 v5, v2 offset:20
	v_mov_b32_e32 v2, s12
	ds_read_b32 v2, v2 offset:772
	s_waitcnt lgkmcnt(2)
	v_mov_b32_e32 v4, v16
	s_waitcnt lgkmcnt(1)
	v_pk_add_f32 v[24:25], v[14:15], v[4:5] neg_lo:[0,1] neg_hi:[0,1]
	v_sub_f32_e32 v6, v3, v17
	v_pk_mul_f32 v[24:25], v[24:25], v[24:25]
	s_nop 0
	v_fma_f32 v4, v6, v6, v24
	v_add_f32_e32 v4, v4, v25
	s_waitcnt lgkmcnt(0)
	v_mul_f32_e32 v6, 0x42700000, v2
	v_cmp_le_f32_e32 vcc, v4, v6
	s_and_saveexec_b64 s[0:1], vcc
	s_cbranch_execz .LBB1_12
; %bb.11:                               ;   in Loop: Header=BB1_8 Depth=2
	v_mul_f32_e32 v4, 0xbd000000, v4
	v_mul_f32_e32 v6, 0x3fb8aa3b, v4
	v_fma_f32 v24, v4, s8, -v6
	v_rndne_f32_e32 v25, v6
	v_fmac_f32_e32 v24, 0x32a5705f, v4
	v_sub_f32_e32 v6, v6, v25
	v_add_f32_e32 v6, v6, v24
	v_cvt_i32_f32_e32 v24, v25
	v_exp_f32_e32 v6, v6
	v_cmp_ngt_f32_e32 vcc, s9, v4
	v_ldexp_f32 v6, v6, v24
	s_nop 0
	v_cndmask_b32_e32 v6, 0, v6, vcc
	v_cmp_nlt_f32_e32 vcc, s10, v4
	s_nop 1
	v_cndmask_b32_e32 v4, v23, v6, vcc
	v_pk_fma_f32 v[10:11], v[4:5], v[16:17], v[10:11] op_sel_hi:[0,1,1]
	v_fmac_f32_e32 v18, v4, v5
	v_fmac_f32_e32 v1, v2, v4
.LBB1_12:                               ;   in Loop: Header=BB1_8 Depth=2
	s_or_b64 exec, exec, s[0:1]
	v_mov_b32_e32 v2, s11
	ds_read_b64 v[16:17], v2 offset:24
	ds_read_b32 v5, v2 offset:32
	v_mov_b32_e32 v2, s12
	ds_read_b32 v2, v2 offset:776
	s_waitcnt lgkmcnt(2)
	v_mov_b32_e32 v4, v16
	s_waitcnt lgkmcnt(1)
	v_pk_add_f32 v[24:25], v[14:15], v[4:5] neg_lo:[0,1] neg_hi:[0,1]
	v_sub_f32_e32 v6, v3, v17
	v_pk_mul_f32 v[24:25], v[24:25], v[24:25]
	s_nop 0
	v_fma_f32 v4, v6, v6, v24
	v_add_f32_e32 v4, v4, v25
	s_waitcnt lgkmcnt(0)
	v_mul_f32_e32 v6, 0x42700000, v2
	v_cmp_le_f32_e32 vcc, v4, v6
	s_and_saveexec_b64 s[0:1], vcc
	s_cbranch_execz .LBB1_14
; %bb.13:                               ;   in Loop: Header=BB1_8 Depth=2
	v_mul_f32_e32 v4, 0xbd000000, v4
	v_mul_f32_e32 v6, 0x3fb8aa3b, v4
	v_fma_f32 v24, v4, s8, -v6
	v_rndne_f32_e32 v25, v6
	v_fmac_f32_e32 v24, 0x32a5705f, v4
	v_sub_f32_e32 v6, v6, v25
	v_add_f32_e32 v6, v6, v24
	v_cvt_i32_f32_e32 v24, v25
	v_exp_f32_e32 v6, v6
	v_cmp_ngt_f32_e32 vcc, s9, v4
	v_ldexp_f32 v6, v6, v24
	s_nop 0
	v_cndmask_b32_e32 v6, 0, v6, vcc
	v_cmp_nlt_f32_e32 vcc, s10, v4
	s_nop 1
	v_cndmask_b32_e32 v4, v23, v6, vcc
	v_pk_fma_f32 v[10:11], v[4:5], v[16:17], v[10:11] op_sel_hi:[0,1,1]
	v_fmac_f32_e32 v18, v4, v5
	v_fmac_f32_e32 v1, v2, v4
.LBB1_14:                               ;   in Loop: Header=BB1_8 Depth=2
	s_or_b64 exec, exec, s[0:1]
	v_mov_b32_e32 v2, s11
	ds_read2_b32 v[16:17], v2 offset0:9 offset1:10
	ds_read_b32 v5, v2 offset:44
	v_mov_b32_e32 v2, s12
	ds_read_b32 v2, v2 offset:780
	s_waitcnt lgkmcnt(2)
	v_mov_b32_e32 v4, v16
	s_waitcnt lgkmcnt(1)
	v_pk_add_f32 v[24:25], v[14:15], v[4:5] neg_lo:[0,1] neg_hi:[0,1]
	v_sub_f32_e32 v6, v3, v17
	v_pk_mul_f32 v[24:25], v[24:25], v[24:25]
	s_nop 0
	v_fma_f32 v4, v6, v6, v24
	v_add_f32_e32 v4, v4, v25
	s_waitcnt lgkmcnt(0)
	v_mul_f32_e32 v6, 0x42700000, v2
	v_cmp_le_f32_e32 vcc, v4, v6
	s_and_saveexec_b64 s[0:1], vcc
	s_cbranch_execz .LBB1_7
; %bb.15:                               ;   in Loop: Header=BB1_8 Depth=2
	v_mul_f32_e32 v4, 0xbd000000, v4
	v_mul_f32_e32 v6, 0x3fb8aa3b, v4
	v_fma_f32 v24, v4, s8, -v6
	v_rndne_f32_e32 v25, v6
	v_fmac_f32_e32 v24, 0x32a5705f, v4
	v_sub_f32_e32 v6, v6, v25
	v_add_f32_e32 v6, v6, v24
	v_cvt_i32_f32_e32 v24, v25
	v_exp_f32_e32 v6, v6
	v_cmp_ngt_f32_e32 vcc, s9, v4
	v_ldexp_f32 v6, v6, v24
	s_nop 0
	v_cndmask_b32_e32 v6, 0, v6, vcc
	v_cmp_nlt_f32_e32 vcc, s10, v4
	s_nop 1
	v_cndmask_b32_e32 v4, v23, v6, vcc
	v_pk_fma_f32 v[10:11], v[4:5], v[16:17], v[10:11] op_sel_hi:[0,1,1]
	v_fmac_f32_e32 v18, v4, v5
	v_fmac_f32_e32 v1, v2, v4
	s_branch .LBB1_7
.LBB1_16:
	s_movk_i32 s0, 0x2710
	v_cmp_gt_i32_e32 vcc, s0, v20
	s_and_saveexec_b64 s[0:1], vcc
	s_cbranch_execz .LBB1_18
; %bb.17:
	v_div_scale_f32 v0, s[0:1], v1, v1, v10
	v_rcp_f32_e32 v2, v0
	v_mov_b32_e32 v4, s6
	v_mov_b32_e32 v5, s7
	v_fma_f32 v3, -v0, v2, 1.0
	v_fmac_f32_e32 v2, v3, v2
	v_div_scale_f32 v3, vcc, v10, v1, v10
	v_mul_f32_e32 v6, v3, v2
	v_fma_f32 v7, -v0, v6, v3
	v_fmac_f32_e32 v6, v7, v2
	v_fma_f32 v0, -v0, v6, v3
	v_div_scale_f32 v3, s[0:1], v1, v1, v11
	v_rcp_f32_e32 v12, v3
	v_div_fmas_f32 v0, v0, v2, v6
	v_div_fixup_f32 v2, v0, v1, v10
	v_lshl_add_u64 v[6:7], v[8:9], 2, v[4:5]
	v_fma_f32 v0, -v3, v12, 1.0
	v_fmac_f32_e32 v12, v0, v12
	v_div_scale_f32 v0, vcc, v11, v1, v11
	v_mul_f32_e32 v4, v0, v12
	v_fma_f32 v5, -v3, v4, v0
	v_fmac_f32_e32 v4, v5, v12
	v_div_scale_f32 v5, s[0:1], v1, v1, v18
	v_rcp_f32_e32 v8, v5
	v_fma_f32 v0, -v3, v4, v0
	v_div_fmas_f32 v0, v0, v12, v4
	v_div_fixup_f32 v3, v0, v1, v11
	v_fma_f32 v0, -v5, v8, 1.0
	v_fmac_f32_e32 v8, v0, v8
	v_div_scale_f32 v0, vcc, v18, v1, v18
	v_mul_f32_e32 v4, v0, v8
	v_fma_f32 v9, -v5, v4, v0
	v_fmac_f32_e32 v4, v9, v8
	v_fma_f32 v0, -v5, v4, v0
	v_div_fmas_f32 v0, v0, v8, v4
	v_div_fixup_f32 v4, v0, v1, v18
	global_store_dwordx3 v[6:7], v[2:4], off
.LBB1_18:
	s_endpgm
	.section	.rodata,"a",@progbits
	.p2align	6, 0x0
	.amdhsa_kernel _ZN10mean_shift3gpu17mean_shift_tilingEPKfPf
		.amdhsa_group_segment_fixed_size 1024
		.amdhsa_private_segment_fixed_size 0
		.amdhsa_kernarg_size 272
		.amdhsa_user_sgpr_count 2
		.amdhsa_user_sgpr_dispatch_ptr 0
		.amdhsa_user_sgpr_queue_ptr 0
		.amdhsa_user_sgpr_kernarg_segment_ptr 1
		.amdhsa_user_sgpr_dispatch_id 0
		.amdhsa_user_sgpr_kernarg_preload_length 0
		.amdhsa_user_sgpr_kernarg_preload_offset 0
		.amdhsa_user_sgpr_private_segment_size 0
		.amdhsa_uses_dynamic_stack 0
		.amdhsa_enable_private_segment 0
		.amdhsa_system_sgpr_workgroup_id_x 1
		.amdhsa_system_sgpr_workgroup_id_y 0
		.amdhsa_system_sgpr_workgroup_id_z 0
		.amdhsa_system_sgpr_workgroup_info 0
		.amdhsa_system_vgpr_workitem_id 0
		.amdhsa_next_free_vgpr 26
		.amdhsa_next_free_sgpr 13
		.amdhsa_accum_offset 28
		.amdhsa_reserve_vcc 1
		.amdhsa_float_round_mode_32 0
		.amdhsa_float_round_mode_16_64 0
		.amdhsa_float_denorm_mode_32 3
		.amdhsa_float_denorm_mode_16_64 3
		.amdhsa_dx10_clamp 1
		.amdhsa_ieee_mode 1
		.amdhsa_fp16_overflow 0
		.amdhsa_tg_split 0
		.amdhsa_exception_fp_ieee_invalid_op 0
		.amdhsa_exception_fp_denorm_src 0
		.amdhsa_exception_fp_ieee_div_zero 0
		.amdhsa_exception_fp_ieee_overflow 0
		.amdhsa_exception_fp_ieee_underflow 0
		.amdhsa_exception_fp_ieee_inexact 0
		.amdhsa_exception_int_div_zero 0
	.end_amdhsa_kernel
	.text
.Lfunc_end1:
	.size	_ZN10mean_shift3gpu17mean_shift_tilingEPKfPf, .Lfunc_end1-_ZN10mean_shift3gpu17mean_shift_tilingEPKfPf
                                        ; -- End function
	.set _ZN10mean_shift3gpu17mean_shift_tilingEPKfPf.num_vgpr, 26
	.set _ZN10mean_shift3gpu17mean_shift_tilingEPKfPf.num_agpr, 0
	.set _ZN10mean_shift3gpu17mean_shift_tilingEPKfPf.numbered_sgpr, 13
	.set _ZN10mean_shift3gpu17mean_shift_tilingEPKfPf.num_named_barrier, 0
	.set _ZN10mean_shift3gpu17mean_shift_tilingEPKfPf.private_seg_size, 0
	.set _ZN10mean_shift3gpu17mean_shift_tilingEPKfPf.uses_vcc, 1
	.set _ZN10mean_shift3gpu17mean_shift_tilingEPKfPf.uses_flat_scratch, 0
	.set _ZN10mean_shift3gpu17mean_shift_tilingEPKfPf.has_dyn_sized_stack, 0
	.set _ZN10mean_shift3gpu17mean_shift_tilingEPKfPf.has_recursion, 0
	.set _ZN10mean_shift3gpu17mean_shift_tilingEPKfPf.has_indirect_call, 0
	.section	.AMDGPU.csdata,"",@progbits
; Kernel info:
; codeLenInByte = 1420
; TotalNumSgprs: 19
; NumVgprs: 26
; NumAgprs: 0
; TotalNumVgprs: 26
; ScratchSize: 0
; MemoryBound: 0
; FloatMode: 240
; IeeeMode: 1
; LDSByteSize: 1024 bytes/workgroup (compile time only)
; SGPRBlocks: 2
; VGPRBlocks: 3
; NumSGPRsForWavesPerEU: 19
; NumVGPRsForWavesPerEU: 26
; AccumOffset: 28
; Occupancy: 8
; WaveLimiterHint : 0
; COMPUTE_PGM_RSRC2:SCRATCH_EN: 0
; COMPUTE_PGM_RSRC2:USER_SGPR: 2
; COMPUTE_PGM_RSRC2:TRAP_HANDLER: 0
; COMPUTE_PGM_RSRC2:TGID_X_EN: 1
; COMPUTE_PGM_RSRC2:TGID_Y_EN: 0
; COMPUTE_PGM_RSRC2:TGID_Z_EN: 0
; COMPUTE_PGM_RSRC2:TIDIG_COMP_CNT: 0
; COMPUTE_PGM_RSRC3_GFX90A:ACCUM_OFFSET: 6
; COMPUTE_PGM_RSRC3_GFX90A:TG_SPLIT: 0
	.text
	.p2alignl 6, 3212836864
	.fill 256, 4, 3212836864
	.section	.AMDGPU.gpr_maximums,"",@progbits
	.set amdgpu.max_num_vgpr, 0
	.set amdgpu.max_num_agpr, 0
	.set amdgpu.max_num_sgpr, 0
	.text
	.type	__hip_cuid_c5bce18cb7c0592e,@object ; @__hip_cuid_c5bce18cb7c0592e
	.section	.bss,"aw",@nobits
	.globl	__hip_cuid_c5bce18cb7c0592e
__hip_cuid_c5bce18cb7c0592e:
	.byte	0                               ; 0x0
	.size	__hip_cuid_c5bce18cb7c0592e, 1

	.ident	"AMD clang version 22.0.0git (https://github.com/RadeonOpenCompute/llvm-project roc-7.2.4 26084 f58b06dce1f9c15707c5f808fd002e18c2accf7e)"
	.section	".note.GNU-stack","",@progbits
	.addrsig
	.addrsig_sym __hip_cuid_c5bce18cb7c0592e
	.amdgpu_metadata
---
amdhsa.kernels:
  - .agpr_count:     0
    .args:
      - .address_space:  global
        .offset:         0
        .size:           8
        .value_kind:     global_buffer
      - .address_space:  global
        .offset:         8
        .size:           8
        .value_kind:     global_buffer
      - .offset:         16
        .size:           4
        .value_kind:     hidden_block_count_x
      - .offset:         20
        .size:           4
        .value_kind:     hidden_block_count_y
      - .offset:         24
        .size:           4
        .value_kind:     hidden_block_count_z
      - .offset:         28
        .size:           2
        .value_kind:     hidden_group_size_x
      - .offset:         30
        .size:           2
        .value_kind:     hidden_group_size_y
      - .offset:         32
        .size:           2
        .value_kind:     hidden_group_size_z
      - .offset:         34
        .size:           2
        .value_kind:     hidden_remainder_x
      - .offset:         36
        .size:           2
        .value_kind:     hidden_remainder_y
      - .offset:         38
        .size:           2
        .value_kind:     hidden_remainder_z
      - .offset:         56
        .size:           8
        .value_kind:     hidden_global_offset_x
      - .offset:         64
        .size:           8
        .value_kind:     hidden_global_offset_y
      - .offset:         72
        .size:           8
        .value_kind:     hidden_global_offset_z
      - .offset:         80
        .size:           2
        .value_kind:     hidden_grid_dims
    .group_segment_fixed_size: 0
    .kernarg_segment_align: 8
    .kernarg_segment_size: 272
    .language:       OpenCL C
    .language_version:
      - 2
      - 0
    .max_flat_workgroup_size: 1024
    .name:           _ZN10mean_shift3gpu10mean_shiftEPKfPf
    .private_segment_fixed_size: 0
    .sgpr_count:     24
    .sgpr_spill_count: 0
    .symbol:         _ZN10mean_shift3gpu10mean_shiftEPKfPf.kd
    .uniform_work_group_size: 1
    .uses_dynamic_stack: false
    .vgpr_count:     14
    .vgpr_spill_count: 0
    .wavefront_size: 64
  - .agpr_count:     0
    .args:
      - .address_space:  global
        .offset:         0
        .size:           8
        .value_kind:     global_buffer
      - .address_space:  global
        .offset:         8
        .size:           8
        .value_kind:     global_buffer
      - .offset:         16
        .size:           4
        .value_kind:     hidden_block_count_x
      - .offset:         20
        .size:           4
        .value_kind:     hidden_block_count_y
      - .offset:         24
        .size:           4
        .value_kind:     hidden_block_count_z
      - .offset:         28
        .size:           2
        .value_kind:     hidden_group_size_x
      - .offset:         30
        .size:           2
        .value_kind:     hidden_group_size_y
      - .offset:         32
        .size:           2
        .value_kind:     hidden_group_size_z
      - .offset:         34
        .size:           2
        .value_kind:     hidden_remainder_x
      - .offset:         36
        .size:           2
        .value_kind:     hidden_remainder_y
      - .offset:         38
        .size:           2
        .value_kind:     hidden_remainder_z
      - .offset:         56
        .size:           8
        .value_kind:     hidden_global_offset_x
      - .offset:         64
        .size:           8
        .value_kind:     hidden_global_offset_y
      - .offset:         72
        .size:           8
        .value_kind:     hidden_global_offset_z
      - .offset:         80
        .size:           2
        .value_kind:     hidden_grid_dims
    .group_segment_fixed_size: 1024
    .kernarg_segment_align: 8
    .kernarg_segment_size: 272
    .language:       OpenCL C
    .language_version:
      - 2
      - 0
    .max_flat_workgroup_size: 1024
    .name:           _ZN10mean_shift3gpu17mean_shift_tilingEPKfPf
    .private_segment_fixed_size: 0
    .sgpr_count:     19
    .sgpr_spill_count: 0
    .symbol:         _ZN10mean_shift3gpu17mean_shift_tilingEPKfPf.kd
    .uniform_work_group_size: 1
    .uses_dynamic_stack: false
    .vgpr_count:     26
    .vgpr_spill_count: 0
    .wavefront_size: 64
amdhsa.target:   amdgcn-amd-amdhsa--gfx950
amdhsa.version:
  - 1
  - 2
...

	.end_amdgpu_metadata
